;; amdgpu-corpus repo=zjin-lcf/HeCBench kind=compiled arch=gfx1100 opt=O3
	.text
	.amdgcn_target "amdgcn-amd-amdhsa--gfx1100"
	.amdhsa_code_object_version 6
	.protected	_Z6cmpfhdPKfS0_PfS1_S0_S0_S0_ii ; -- Begin function _Z6cmpfhdPKfS0_PfS1_S0_S0_S0_ii
	.globl	_Z6cmpfhdPKfS0_PfS1_S0_S0_S0_ii
	.p2align	8
	.type	_Z6cmpfhdPKfS0_PfS1_S0_S0_S0_ii,@function
_Z6cmpfhdPKfS0_PfS1_S0_S0_S0_ii:        ; @_Z6cmpfhdPKfS0_PfS1_S0_S0_S0_ii
; %bb.0:
	s_clause 0x1
	s_load_b32 s2, s[0:1], 0x4c
	s_load_b64 s[4:5], s[0:1], 0x38
	s_waitcnt lgkmcnt(0)
	s_and_b32 s2, s2, 0xffff
	s_delay_alu instid0(SALU_CYCLE_1) | instskip(SKIP_1) | instid1(VALU_DEP_1)
	v_mad_u64_u32 v[1:2], null, s15, s2, v[0:1]
	s_mov_b32 s2, exec_lo
	v_cmpx_gt_i32_e64 s4, v1
	s_cbranch_execz .LBB0_5
; %bb.1:
	s_load_b128 s[8:11], s[0:1], 0x10
	v_ashrrev_i32_e32 v2, 31, v1
	s_cmp_lt_i32 s5, 1
	s_delay_alu instid0(VALU_DEP_1) | instskip(SKIP_1) | instid1(VALU_DEP_1)
	v_lshlrev_b64 v[4:5], 2, v[1:2]
	s_waitcnt lgkmcnt(0)
	v_add_co_u32 v0, vcc_lo, s8, v4
	s_delay_alu instid0(VALU_DEP_2)
	v_add_co_ci_u32_e32 v1, vcc_lo, s9, v5, vcc_lo
	v_add_co_u32 v2, vcc_lo, s10, v4
	v_add_co_ci_u32_e32 v3, vcc_lo, s11, v5, vcc_lo
	global_load_b32 v6, v[0:1], off
	global_load_b32 v7, v[2:3], off
	s_cbranch_scc1 .LBB0_4
; %bb.2:
	s_clause 0x1
	s_load_b128 s[8:11], s[0:1], 0x20
	s_load_b64 s[2:3], s[0:1], 0x30
	s_getpc_b64 s[6:7]
	s_add_u32 s6, s6, k@rel32@lo+4
	s_addc_u32 s7, s7, k@rel32@hi+12
	s_waitcnt lgkmcnt(0)
	v_add_co_u32 v8, vcc_lo, s8, v4
	v_add_co_ci_u32_e32 v9, vcc_lo, s9, v5, vcc_lo
	v_add_co_u32 v10, vcc_lo, s10, v4
	v_add_co_ci_u32_e32 v11, vcc_lo, s11, v5, vcc_lo
	;; [unrolled: 2-line block ×3, first 2 shown]
	global_load_b32 v4, v[8:9], off
	global_load_b32 v5, v[10:11], off
	;; [unrolled: 1-line block ×3, first 2 shown]
	s_load_b128 s[0:3], s[0:1], 0x0
	.p2align	6
.LBB0_3:                                ; =>This Inner Loop Header: Depth=1
	s_clause 0x1
	s_load_b64 s[8:9], s[6:7], 0x0
	s_load_b32 s4, s[6:7], 0x8
	s_add_i32 s5, s5, -1
	s_add_u32 s6, s6, 12
	s_addc_u32 s7, s7, 0
	s_waitcnt vmcnt(1) lgkmcnt(0)
	v_mul_f32_e32 v9, s9, v5
	s_delay_alu instid0(VALU_DEP_1) | instskip(SKIP_1) | instid1(VALU_DEP_1)
	v_fmac_f32_e32 v9, s8, v4
	s_waitcnt vmcnt(0)
	v_fmac_f32_e32 v9, s4, v8
	s_load_b32 s4, s[0:1], 0x0
	s_load_b32 s8, s[2:3], 0x0
	s_add_u32 s0, s0, 4
	s_addc_u32 s1, s1, 0
	s_add_u32 s2, s2, 4
	v_mul_f32_e32 v9, 0x40c90fdb, v9
	s_addc_u32 s3, s3, 0
	s_cmp_eq_u32 s5, 0
	s_delay_alu instid0(VALU_DEP_1) | instskip(NEXT) | instid1(VALU_DEP_1)
	v_mul_f32_e32 v9, 0.15915494, v9
	v_sin_f32_e32 v10, v9
	v_cos_f32_e32 v9, v9
	s_waitcnt lgkmcnt(0)
	s_waitcnt_depctr 0xfff
	v_mul_f32_e32 v11, s8, v10
	v_mul_f32_e32 v10, s4, v10
	s_delay_alu instid0(VALU_DEP_1) | instskip(NEXT) | instid1(VALU_DEP_3)
	v_fmac_f32_e32 v10, s8, v9
	v_fma_f32 v11, s4, v9, -v11
	s_delay_alu instid0(VALU_DEP_1)
	v_dual_add_f32 v7, v7, v10 :: v_dual_add_f32 v6, v6, v11
	s_cbranch_scc0 .LBB0_3
.LBB0_4:
	s_waitcnt vmcnt(1)
	global_store_b32 v[0:1], v6, off
	s_waitcnt vmcnt(0)
	global_store_b32 v[2:3], v7, off
.LBB0_5:
	s_nop 0
	s_sendmsg sendmsg(MSG_DEALLOC_VGPRS)
	s_endpgm
	.section	.rodata,"a",@progbits
	.p2align	6, 0x0
	.amdhsa_kernel _Z6cmpfhdPKfS0_PfS1_S0_S0_S0_ii
		.amdhsa_group_segment_fixed_size 0
		.amdhsa_private_segment_fixed_size 0
		.amdhsa_kernarg_size 320
		.amdhsa_user_sgpr_count 15
		.amdhsa_user_sgpr_dispatch_ptr 0
		.amdhsa_user_sgpr_queue_ptr 0
		.amdhsa_user_sgpr_kernarg_segment_ptr 1
		.amdhsa_user_sgpr_dispatch_id 0
		.amdhsa_user_sgpr_private_segment_size 0
		.amdhsa_wavefront_size32 1
		.amdhsa_uses_dynamic_stack 0
		.amdhsa_enable_private_segment 0
		.amdhsa_system_sgpr_workgroup_id_x 1
		.amdhsa_system_sgpr_workgroup_id_y 0
		.amdhsa_system_sgpr_workgroup_id_z 0
		.amdhsa_system_sgpr_workgroup_info 0
		.amdhsa_system_vgpr_workitem_id 0
		.amdhsa_next_free_vgpr 14
		.amdhsa_next_free_sgpr 16
		.amdhsa_reserve_vcc 1
		.amdhsa_float_round_mode_32 0
		.amdhsa_float_round_mode_16_64 0
		.amdhsa_float_denorm_mode_32 3
		.amdhsa_float_denorm_mode_16_64 3
		.amdhsa_dx10_clamp 1
		.amdhsa_ieee_mode 1
		.amdhsa_fp16_overflow 0
		.amdhsa_workgroup_processor_mode 1
		.amdhsa_memory_ordered 1
		.amdhsa_forward_progress 0
		.amdhsa_shared_vgpr_count 0
		.amdhsa_exception_fp_ieee_invalid_op 0
		.amdhsa_exception_fp_denorm_src 0
		.amdhsa_exception_fp_ieee_div_zero 0
		.amdhsa_exception_fp_ieee_overflow 0
		.amdhsa_exception_fp_ieee_underflow 0
		.amdhsa_exception_fp_ieee_inexact 0
		.amdhsa_exception_int_div_zero 0
	.end_amdhsa_kernel
	.text
.Lfunc_end0:
	.size	_Z6cmpfhdPKfS0_PfS1_S0_S0_S0_ii, .Lfunc_end0-_Z6cmpfhdPKfS0_PfS1_S0_S0_S0_ii
                                        ; -- End function
	.section	.AMDGPU.csdata,"",@progbits
; Kernel info:
; codeLenInByte = 452
; NumSgprs: 18
; NumVgprs: 14
; ScratchSize: 0
; MemoryBound: 0
; FloatMode: 240
; IeeeMode: 1
; LDSByteSize: 0 bytes/workgroup (compile time only)
; SGPRBlocks: 2
; VGPRBlocks: 1
; NumSGPRsForWavesPerEU: 18
; NumVGPRsForWavesPerEU: 14
; Occupancy: 16
; WaveLimiterHint : 0
; COMPUTE_PGM_RSRC2:SCRATCH_EN: 0
; COMPUTE_PGM_RSRC2:USER_SGPR: 15
; COMPUTE_PGM_RSRC2:TRAP_HANDLER: 0
; COMPUTE_PGM_RSRC2:TGID_X_EN: 1
; COMPUTE_PGM_RSRC2:TGID_Y_EN: 0
; COMPUTE_PGM_RSRC2:TGID_Z_EN: 0
; COMPUTE_PGM_RSRC2:TIDIG_COMP_CNT: 0
	.text
	.p2alignl 7, 3214868480
	.fill 96, 4, 3214868480
	.protected	k                       ; @k
	.type	k,@object
	.section	.rodata,"a",@progbits
	.globl	k
	.p2align	4, 0x0
k:
	.zero	49152
	.size	k, 49152

	.type	__hip_cuid_103556d1d7ba6907,@object ; @__hip_cuid_103556d1d7ba6907
	.section	.bss,"aw",@nobits
	.globl	__hip_cuid_103556d1d7ba6907
__hip_cuid_103556d1d7ba6907:
	.byte	0                               ; 0x0
	.size	__hip_cuid_103556d1d7ba6907, 1

	.ident	"AMD clang version 19.0.0git (https://github.com/RadeonOpenCompute/llvm-project roc-6.4.0 25133 c7fe45cf4b819c5991fe208aaa96edf142730f1d)"
	.section	".note.GNU-stack","",@progbits
	.addrsig
	.addrsig_sym k
	.addrsig_sym __hip_cuid_103556d1d7ba6907
	.amdgpu_metadata
---
amdhsa.kernels:
  - .args:
      - .actual_access:  read_only
        .address_space:  global
        .offset:         0
        .size:           8
        .value_kind:     global_buffer
      - .actual_access:  read_only
        .address_space:  global
        .offset:         8
        .size:           8
        .value_kind:     global_buffer
      - .address_space:  global
        .offset:         16
        .size:           8
        .value_kind:     global_buffer
      - .address_space:  global
        .offset:         24
        .size:           8
        .value_kind:     global_buffer
      - .actual_access:  read_only
        .address_space:  global
        .offset:         32
        .size:           8
        .value_kind:     global_buffer
      - .actual_access:  read_only
        .address_space:  global
        .offset:         40
        .size:           8
        .value_kind:     global_buffer
      - .actual_access:  read_only
        .address_space:  global
        .offset:         48
        .size:           8
        .value_kind:     global_buffer
      - .offset:         56
        .size:           4
        .value_kind:     by_value
      - .offset:         60
        .size:           4
        .value_kind:     by_value
      - .offset:         64
        .size:           4
        .value_kind:     hidden_block_count_x
      - .offset:         68
        .size:           4
        .value_kind:     hidden_block_count_y
      - .offset:         72
        .size:           4
        .value_kind:     hidden_block_count_z
      - .offset:         76
        .size:           2
        .value_kind:     hidden_group_size_x
      - .offset:         78
        .size:           2
        .value_kind:     hidden_group_size_y
      - .offset:         80
        .size:           2
        .value_kind:     hidden_group_size_z
      - .offset:         82
        .size:           2
        .value_kind:     hidden_remainder_x
      - .offset:         84
        .size:           2
        .value_kind:     hidden_remainder_y
      - .offset:         86
        .size:           2
        .value_kind:     hidden_remainder_z
      - .offset:         104
        .size:           8
        .value_kind:     hidden_global_offset_x
      - .offset:         112
        .size:           8
        .value_kind:     hidden_global_offset_y
      - .offset:         120
        .size:           8
        .value_kind:     hidden_global_offset_z
      - .offset:         128
        .size:           2
        .value_kind:     hidden_grid_dims
    .group_segment_fixed_size: 0
    .kernarg_segment_align: 8
    .kernarg_segment_size: 320
    .language:       OpenCL C
    .language_version:
      - 2
      - 0
    .max_flat_workgroup_size: 1024
    .name:           _Z6cmpfhdPKfS0_PfS1_S0_S0_S0_ii
    .private_segment_fixed_size: 0
    .sgpr_count:     18
    .sgpr_spill_count: 0
    .symbol:         _Z6cmpfhdPKfS0_PfS1_S0_S0_S0_ii.kd
    .uniform_work_group_size: 1
    .uses_dynamic_stack: false
    .vgpr_count:     14
    .vgpr_spill_count: 0
    .wavefront_size: 32
    .workgroup_processor_mode: 1
amdhsa.target:   amdgcn-amd-amdhsa--gfx1100
amdhsa.version:
  - 1
  - 2
...

	.end_amdgpu_metadata
